;; amdgpu-corpus repo=ROCm/rocFFT kind=compiled arch=gfx1030 opt=O3
	.text
	.amdgcn_target "amdgcn-amd-amdhsa--gfx1030"
	.amdhsa_code_object_version 6
	.protected	fft_rtc_fwd_len128_factors_16_8_wgs_256_tpt_16_dp_ip_CI_sbcc_twdbase8_2step ; -- Begin function fft_rtc_fwd_len128_factors_16_8_wgs_256_tpt_16_dp_ip_CI_sbcc_twdbase8_2step
	.globl	fft_rtc_fwd_len128_factors_16_8_wgs_256_tpt_16_dp_ip_CI_sbcc_twdbase8_2step
	.p2align	8
	.type	fft_rtc_fwd_len128_factors_16_8_wgs_256_tpt_16_dp_ip_CI_sbcc_twdbase8_2step,@function
fft_rtc_fwd_len128_factors_16_8_wgs_256_tpt_16_dp_ip_CI_sbcc_twdbase8_2step: ; @fft_rtc_fwd_len128_factors_16_8_wgs_256_tpt_16_dp_ip_CI_sbcc_twdbase8_2step
; %bb.0:
	s_load_dwordx4 s[12:15], s[4:5], 0x18
	s_mov_b32 s7, 0
	s_mov_b64 s[24:25], 0
	s_waitcnt lgkmcnt(0)
	s_load_dwordx2 s[20:21], s[12:13], 0x8
	s_waitcnt lgkmcnt(0)
	s_add_u32 s0, s20, -1
	s_addc_u32 s1, s21, -1
	s_lshr_b64 s[0:1], s[0:1], 4
	s_add_u32 s22, s0, 1
	s_addc_u32 s23, s1, 0
	v_cmp_lt_u64_e64 s0, s[6:7], s[22:23]
	s_and_b32 vcc_lo, exec_lo, s0
	s_cbranch_vccnz .LBB0_2
; %bb.1:
	v_cvt_f32_u32_e32 v1, s22
	s_sub_i32 s1, 0, s22
	s_mov_b32 s25, s7
	v_rcp_iflag_f32_e32 v1, v1
	v_mul_f32_e32 v1, 0x4f7ffffe, v1
	v_cvt_u32_f32_e32 v1, v1
	v_readfirstlane_b32 s0, v1
	s_mul_i32 s1, s1, s0
	s_mul_hi_u32 s1, s0, s1
	s_add_i32 s0, s0, s1
	s_mul_hi_u32 s0, s6, s0
	s_mul_i32 s1, s0, s22
	s_add_i32 s2, s0, 1
	s_sub_i32 s1, s6, s1
	s_sub_i32 s3, s1, s22
	s_cmp_ge_u32 s1, s22
	s_cselect_b32 s0, s2, s0
	s_cselect_b32 s1, s3, s1
	s_add_i32 s2, s0, 1
	s_cmp_ge_u32 s1, s22
	s_cselect_b32 s24, s2, s0
.LBB0_2:
	s_load_dwordx4 s[0:3], s[14:15], 0x0
	s_load_dwordx4 s[8:11], s[4:5], 0x8
	s_mul_i32 s16, s24, s23
	s_mul_hi_u32 s17, s24, s22
	s_mul_i32 s18, s24, s22
	s_add_i32 s17, s17, s16
	s_sub_u32 s18, s6, s18
	s_subb_u32 s19, 0, s17
	s_clause 0x1
	s_load_dwordx2 s[16:17], s[4:5], 0x0
	s_load_dwordx2 s[4:5], s[4:5], 0x58
	v_alignbit_b32 v1, s19, s18, 28
	s_lshl_b64 s[18:19], s[18:19], 4
	s_waitcnt lgkmcnt(0)
	v_mul_lo_u32 v1, s2, v1
	s_mul_hi_u32 s26, s2, s18
	v_cmp_lt_u64_e64 s27, s[10:11], 3
	s_mul_i32 s28, s3, s18
	s_and_b32 vcc_lo, exec_lo, s27
	v_add_nc_u32_e32 v2, s26, v1
	s_mul_i32 s26, s2, s18
	v_mov_b32_e32 v1, s26
	v_add_nc_u32_e32 v2, s28, v2
	s_cbranch_vccnz .LBB0_11
; %bb.3:
	s_add_u32 s26, s14, 16
	s_addc_u32 s27, s15, 0
	s_add_u32 s12, s12, 16
	s_addc_u32 s13, s13, 0
	s_mov_b64 s[28:29], 2
	s_mov_b32 s30, 0
	s_branch .LBB0_5
.LBB0_4:                                ;   in Loop: Header=BB0_5 Depth=1
	s_load_dwordx2 s[38:39], s[26:27], 0x0
	s_mul_i32 s23, s34, s23
	s_mul_hi_u32 s31, s34, s22
	s_mul_i32 s33, s35, s22
	s_mul_i32 s35, s36, s35
	s_mul_hi_u32 s40, s36, s34
	s_mul_i32 s41, s37, s34
	s_add_i32 s23, s31, s23
	s_add_i32 s31, s40, s35
	s_mul_i32 s42, s36, s34
	s_add_i32 s23, s23, s33
	s_add_i32 s31, s31, s41
	s_sub_u32 s24, s24, s42
	s_subb_u32 s25, s25, s31
	s_mul_i32 s22, s34, s22
	s_waitcnt lgkmcnt(0)
	s_mul_i32 s25, s38, s25
	s_mul_hi_u32 s31, s38, s24
	s_mul_i32 s33, s39, s24
	s_add_i32 s25, s31, s25
	s_mul_i32 s24, s38, s24
	s_add_i32 s25, s25, s33
	s_add_u32 s28, s28, 1
	s_addc_u32 s29, s29, 0
	v_add_co_u32 v1, vcc_lo, s24, v1
	v_cmp_ge_u64_e64 s31, s[28:29], s[10:11]
	v_add_co_ci_u32_e32 v2, vcc_lo, s25, v2, vcc_lo
	s_add_u32 s26, s26, 8
	s_addc_u32 s27, s27, 0
	s_add_u32 s12, s12, 8
	s_addc_u32 s13, s13, 0
	s_and_b32 vcc_lo, exec_lo, s31
	s_mov_b64 s[24:25], s[36:37]
	s_cbranch_vccnz .LBB0_9
.LBB0_5:                                ; =>This Inner Loop Header: Depth=1
	s_load_dwordx2 s[34:35], s[12:13], 0x0
	s_waitcnt lgkmcnt(0)
	s_or_b64 s[36:37], s[24:25], s[34:35]
	s_mov_b32 s31, s37
                                        ; implicit-def: $sgpr36_sgpr37
	s_cmp_lg_u64 s[30:31], 0
	s_mov_b32 s31, -1
	s_cbranch_scc0 .LBB0_7
; %bb.6:                                ;   in Loop: Header=BB0_5 Depth=1
	v_cvt_f32_u32_e32 v3, s34
	v_cvt_f32_u32_e32 v4, s35
	s_sub_u32 s36, 0, s34
	s_subb_u32 s37, 0, s35
	v_fmac_f32_e32 v3, 0x4f800000, v4
	v_rcp_f32_e32 v3, v3
	v_mul_f32_e32 v3, 0x5f7ffffc, v3
	v_mul_f32_e32 v4, 0x2f800000, v3
	v_trunc_f32_e32 v4, v4
	v_fmac_f32_e32 v3, 0xcf800000, v4
	v_cvt_u32_f32_e32 v4, v4
	v_cvt_u32_f32_e32 v3, v3
	v_readfirstlane_b32 s31, v4
	v_readfirstlane_b32 s33, v3
	s_mul_i32 s38, s36, s31
	s_mul_hi_u32 s40, s36, s33
	s_mul_i32 s39, s37, s33
	s_add_i32 s38, s40, s38
	s_mul_i32 s41, s36, s33
	s_add_i32 s38, s38, s39
	s_mul_hi_u32 s40, s33, s41
	s_mul_hi_u32 s42, s31, s41
	s_mul_i32 s39, s31, s41
	s_mul_hi_u32 s41, s33, s38
	s_mul_i32 s33, s33, s38
	s_mul_hi_u32 s43, s31, s38
	s_add_u32 s33, s40, s33
	s_addc_u32 s40, 0, s41
	s_add_u32 s33, s33, s39
	s_mul_i32 s38, s31, s38
	s_addc_u32 s33, s40, s42
	s_addc_u32 s39, s43, 0
	s_add_u32 s33, s33, s38
	s_addc_u32 s38, 0, s39
	v_add_co_u32 v3, s33, v3, s33
	s_cmp_lg_u32 s33, 0
	s_addc_u32 s31, s31, s38
	v_readfirstlane_b32 s33, v3
	s_mul_i32 s38, s36, s31
	s_mul_hi_u32 s39, s36, s33
	s_mul_i32 s37, s37, s33
	s_add_i32 s38, s39, s38
	s_mul_i32 s36, s36, s33
	s_add_i32 s38, s38, s37
	s_mul_hi_u32 s39, s31, s36
	s_mul_i32 s40, s31, s36
	s_mul_hi_u32 s36, s33, s36
	s_mul_hi_u32 s41, s33, s38
	s_mul_i32 s33, s33, s38
	s_mul_hi_u32 s37, s31, s38
	s_add_u32 s33, s36, s33
	s_addc_u32 s36, 0, s41
	s_add_u32 s33, s33, s40
	s_mul_i32 s38, s31, s38
	s_addc_u32 s33, s36, s39
	s_addc_u32 s36, s37, 0
	s_add_u32 s33, s33, s38
	s_addc_u32 s36, 0, s36
	v_add_co_u32 v3, s33, v3, s33
	s_cmp_lg_u32 s33, 0
	s_addc_u32 s31, s31, s36
	v_readfirstlane_b32 s33, v3
	s_mul_i32 s37, s24, s31
	s_mul_hi_u32 s36, s24, s31
	s_mul_hi_u32 s38, s25, s31
	s_mul_i32 s31, s25, s31
	s_mul_hi_u32 s39, s24, s33
	s_mul_hi_u32 s40, s25, s33
	s_mul_i32 s33, s25, s33
	s_add_u32 s37, s39, s37
	s_addc_u32 s36, 0, s36
	s_add_u32 s33, s37, s33
	s_addc_u32 s33, s36, s40
	s_addc_u32 s36, s38, 0
	s_add_u32 s33, s33, s31
	s_addc_u32 s36, 0, s36
	s_mul_hi_u32 s31, s34, s33
	s_mul_i32 s38, s34, s36
	s_mul_i32 s39, s34, s33
	s_add_i32 s31, s31, s38
	v_sub_co_u32 v3, s38, s24, s39
	s_mul_i32 s37, s35, s33
	s_add_i32 s31, s31, s37
	v_sub_co_u32 v4, s39, v3, s34
	s_sub_i32 s37, s25, s31
	s_cmp_lg_u32 s38, 0
	s_subb_u32 s37, s37, s35
	s_cmp_lg_u32 s39, 0
	v_readfirstlane_b32 s39, v4
	s_subb_u32 s37, s37, 0
	s_cmp_ge_u32 s37, s35
	s_cselect_b32 s40, -1, 0
	s_cmp_ge_u32 s39, s34
	s_cselect_b32 s39, -1, 0
	s_cmp_eq_u32 s37, s35
	s_cselect_b32 s37, s39, s40
	s_add_u32 s39, s33, 1
	s_addc_u32 s40, s36, 0
	s_add_u32 s41, s33, 2
	s_addc_u32 s42, s36, 0
	s_cmp_lg_u32 s37, 0
	s_cselect_b32 s39, s41, s39
	s_cselect_b32 s37, s42, s40
	s_cmp_lg_u32 s38, 0
	v_readfirstlane_b32 s38, v3
	s_subb_u32 s31, s25, s31
	s_cmp_ge_u32 s31, s35
	s_cselect_b32 s40, -1, 0
	s_cmp_ge_u32 s38, s34
	s_cselect_b32 s38, -1, 0
	s_cmp_eq_u32 s31, s35
	s_cselect_b32 s31, s38, s40
	s_cmp_lg_u32 s31, 0
	s_mov_b32 s31, 0
	s_cselect_b32 s37, s37, s36
	s_cselect_b32 s36, s39, s33
.LBB0_7:                                ;   in Loop: Header=BB0_5 Depth=1
	s_andn2_b32 vcc_lo, exec_lo, s31
	s_cbranch_vccnz .LBB0_4
; %bb.8:                                ;   in Loop: Header=BB0_5 Depth=1
	v_cvt_f32_u32_e32 v3, s34
	s_sub_i32 s33, 0, s34
	v_rcp_iflag_f32_e32 v3, v3
	v_mul_f32_e32 v3, 0x4f7ffffe, v3
	v_cvt_u32_f32_e32 v3, v3
	v_readfirstlane_b32 s31, v3
	s_mul_i32 s33, s33, s31
	s_mul_hi_u32 s33, s31, s33
	s_add_i32 s31, s31, s33
	s_mul_hi_u32 s31, s24, s31
	s_mul_i32 s33, s31, s34
	s_add_i32 s36, s31, 1
	s_sub_i32 s33, s24, s33
	s_sub_i32 s37, s33, s34
	s_cmp_ge_u32 s33, s34
	s_cselect_b32 s31, s36, s31
	s_cselect_b32 s33, s37, s33
	s_add_i32 s36, s31, 1
	s_cmp_ge_u32 s33, s34
	s_mov_b32 s37, s30
	s_cselect_b32 s36, s36, s31
	s_branch .LBB0_4
.LBB0_9:
	v_cmp_lt_u64_e64 s7, s[6:7], s[22:23]
	s_mov_b64 s[24:25], 0
	s_and_b32 vcc_lo, exec_lo, s7
	s_cbranch_vccnz .LBB0_11
; %bb.10:
	v_cvt_f32_u32_e32 v3, s22
	s_sub_i32 s12, 0, s22
	v_rcp_iflag_f32_e32 v3, v3
	v_mul_f32_e32 v3, 0x4f7ffffe, v3
	v_cvt_u32_f32_e32 v3, v3
	v_readfirstlane_b32 s7, v3
	s_mul_i32 s12, s12, s7
	s_mul_hi_u32 s12, s7, s12
	s_add_i32 s7, s7, s12
	s_mul_hi_u32 s7, s6, s7
	s_mul_i32 s12, s7, s22
	s_sub_i32 s6, s6, s12
	s_add_i32 s12, s7, 1
	s_sub_i32 s13, s6, s22
	s_cmp_ge_u32 s6, s22
	s_cselect_b32 s7, s12, s7
	s_cselect_b32 s6, s13, s6
	s_add_i32 s12, s7, 1
	s_cmp_ge_u32 s6, s22
	s_cselect_b32 s24, s12, s7
.LBB0_11:
	s_lshl_b64 s[6:7], s[10:11], 3
	v_and_b32_e32 v75, 15, v0
	s_add_u32 s6, s14, s6
	s_addc_u32 s7, s15, s7
	v_lshrrev_b32_e32 v73, 4, v0
	s_load_dwordx2 s[6:7], s[6:7], 0x0
	v_mov_b32_e32 v4, s19
	v_or_b32_e32 v3, s18, v75
	v_lshlrev_b32_e32 v74, 7, v75
	v_add_nc_u32_e32 v76, 16, v73
	v_add_nc_u32_e32 v77, 32, v73
	;; [unrolled: 1-line block ×3, first 2 shown]
	v_or_b32_e32 v71, 64, v73
	v_add_nc_u32_e32 v68, 0x50, v73
	v_lshlrev_b32_e32 v66, 11, v75
	v_lshlrev_b32_e32 v67, 4, v73
	v_add_nc_u32_e32 v70, 0x60, v73
	v_add_nc_u32_e32 v69, 0x70, v73
	s_waitcnt lgkmcnt(0)
	s_mul_i32 s7, s7, s24
	s_mul_hi_u32 s10, s6, s24
	s_mul_i32 s6, s6, s24
	s_add_i32 s10, s10, s7
	v_add_co_u32 v0, vcc_lo, s6, v1
	v_add_co_ci_u32_e32 v1, vcc_lo, s10, v2, vcc_lo
	s_add_u32 s6, s18, 16
	s_addc_u32 s7, s19, 0
	v_cmp_gt_u64_e32 vcc_lo, s[20:21], v[3:4]
	v_cmp_le_u64_e64 s6, s[6:7], s[20:21]
	v_lshlrev_b64 v[64:65], 4, v[0:1]
	s_or_b32 s14, s6, vcc_lo
	s_and_saveexec_b32 s6, s14
	s_cbranch_execz .LBB0_13
; %bb.12:
	v_mad_u64_u32 v[0:1], null, s2, v75, 0
	v_mad_u64_u32 v[2:3], null, s0, v73, 0
	v_mad_u64_u32 v[4:5], null, s0, v76, 0
	v_mad_u64_u32 v[8:9], null, s0, v77, 0
	v_or_b32_e32 v32, v74, v73
	v_add_nc_u32_e32 v33, v74, v73
	v_mad_u64_u32 v[6:7], null, s3, v75, v[1:2]
	v_mov_b32_e32 v1, v5
	v_mad_u64_u32 v[10:11], null, s1, v73, v[3:4]
	v_add_co_u32 v7, vcc_lo, s4, v64
	v_mad_u64_u32 v[11:12], null, s1, v76, v[1:2]
	v_mov_b32_e32 v1, v6
	v_add_co_ci_u32_e32 v14, vcc_lo, s5, v65, vcc_lo
	v_mov_b32_e32 v3, v10
	v_mad_u64_u32 v[12:13], null, s0, v72, 0
	v_lshlrev_b64 v[0:1], 4, v[0:1]
	v_mov_b32_e32 v5, v11
	v_lshlrev_b64 v[2:3], 4, v[2:3]
	v_mov_b32_e32 v6, v9
	v_mad_u64_u32 v[10:11], null, s0, v71, 0
	v_add_co_u32 v28, vcc_lo, v7, v0
	v_add_co_ci_u32_e32 v29, vcc_lo, v14, v1, vcc_lo
	v_lshlrev_b64 v[0:1], 4, v[4:5]
	v_add_co_u32 v2, vcc_lo, v28, v2
	v_add_co_ci_u32_e32 v3, vcc_lo, v29, v3, vcc_lo
	v_mad_u64_u32 v[4:5], null, s1, v77, v[6:7]
	v_mov_b32_e32 v5, v13
	v_add_co_u32 v6, vcc_lo, v28, v0
	v_mad_u64_u32 v[16:17], null, s1, v71, v[11:12]
	v_mad_u64_u32 v[17:18], null, s0, v70, 0
	;; [unrolled: 1-line block ×4, first 2 shown]
	v_mov_b32_e32 v9, v4
	v_mov_b32_e32 v11, v16
	v_add_co_ci_u32_e32 v7, vcc_lo, v29, v1, vcc_lo
	v_lshlrev_b64 v[12:13], 4, v[12:13]
	v_lshlrev_b64 v[8:9], 4, v[8:9]
	v_mad_u64_u32 v[19:20], null, s1, v68, v[15:16]
	v_mad_u64_u32 v[20:21], null, s0, v69, 0
	v_lshlrev_b64 v[10:11], 4, v[10:11]
	v_add_co_u32 v8, vcc_lo, v28, v8
	v_add_co_ci_u32_e32 v9, vcc_lo, v29, v9, vcc_lo
	v_mov_b32_e32 v15, v19
	v_mov_b32_e32 v16, v21
	v_mad_u64_u32 v[18:19], null, s1, v70, v[18:19]
	v_add_co_u32 v12, vcc_lo, v28, v12
	v_mad_u64_u32 v[21:22], null, s1, v69, v[16:17]
	v_lshlrev_b64 v[14:15], 4, v[14:15]
	v_add_co_ci_u32_e32 v13, vcc_lo, v29, v13, vcc_lo
	v_add_co_u32 v22, vcc_lo, v28, v10
	v_add_co_ci_u32_e32 v23, vcc_lo, v29, v11, vcc_lo
	v_lshlrev_b64 v[10:11], 4, v[17:18]
	v_add_co_u32 v24, vcc_lo, v28, v14
	v_add_co_ci_u32_e32 v25, vcc_lo, v29, v15, vcc_lo
	v_lshlrev_b64 v[14:15], 4, v[20:21]
	v_add_co_u32 v26, vcc_lo, v28, v10
	v_add_co_ci_u32_e32 v27, vcc_lo, v29, v11, vcc_lo
	s_clause 0x1
	global_load_dwordx4 v[0:3], v[2:3], off
	global_load_dwordx4 v[4:7], v[6:7], off
	v_add_co_u32 v28, vcc_lo, v28, v14
	v_add_co_ci_u32_e32 v29, vcc_lo, v29, v15, vcc_lo
	s_clause 0x5
	global_load_dwordx4 v[8:11], v[8:9], off
	global_load_dwordx4 v[12:15], v[12:13], off
	;; [unrolled: 1-line block ×6, first 2 shown]
	v_lshl_add_u32 v32, v32, 4, 0
	v_lshl_add_u32 v33, v33, 4, 0
	v_add3_u32 v34, 0, v66, v67
	s_waitcnt vmcnt(7)
	ds_write_b128 v32, v[0:3]
	s_waitcnt vmcnt(6)
	ds_write_b128 v33, v[4:7] offset:256
	s_waitcnt vmcnt(5)
	ds_write_b128 v33, v[8:11] offset:512
	;; [unrolled: 2-line block ×7, first 2 shown]
.LBB0_13:
	s_or_b32 exec_lo, exec_lo, s6
	v_lshlrev_b32_e32 v0, 7, v73
	v_lshlrev_b32_e32 v1, 4, v75
	s_waitcnt lgkmcnt(0)
	s_barrier
	buffer_gl0_inv
	v_and_b32_e32 v0, 0x780, v0
	v_add_nc_u32_e32 v81, 0, v1
	s_mov_b32 s15, exec_lo
	v_lshlrev_b32_e32 v80, 4, v0
	v_add3_u32 v79, 0, v80, v1
	v_add_nc_u32_e32 v78, v81, v80
	ds_read_b128 v[8:11], v79
	ds_read_b128 v[0:3], v78 offset:128
	ds_read_b128 v[28:31], v78 offset:256
	;; [unrolled: 1-line block ×15, first 2 shown]
	s_waitcnt lgkmcnt(0)
	s_barrier
	buffer_gl0_inv
	v_cmpx_gt_u32_e32 8, v75
	s_cbranch_execz .LBB0_15
; %bb.14:
	v_add_f64 v[34:35], v[10:11], -v[34:35]
	v_add_f64 v[36:37], v[20:21], -v[36:37]
	;; [unrolled: 1-line block ×16, first 2 shown]
	s_mov_b32 s6, 0x667f3bcd
	s_mov_b32 s7, 0x3fe6a09e
	;; [unrolled: 1-line block ×6, first 2 shown]
	v_fma_f64 v[10:11], v[10:11], 2.0, -v[34:35]
	v_add_f64 v[82:83], v[34:35], v[36:37]
	v_fma_f64 v[30:31], v[30:31], 2.0, -v[54:55]
	v_add_f64 v[84:85], v[54:55], v[60:61]
	v_fma_f64 v[28:29], v[28:29], 2.0, -v[52:53]
	v_add_f64 v[86:87], v[52:53], -v[62:63]
	v_fma_f64 v[26:27], v[26:27], 2.0, -v[62:63]
	v_add_f64 v[88:89], v[42:43], v[44:45]
	v_fma_f64 v[12:13], v[12:13], 2.0, -v[44:45]
	v_add_f64 v[90:91], v[50:51], v[56:57]
	v_fma_f64 v[4:5], v[4:5], 2.0, -v[48:49]
	v_add_f64 v[92:93], v[48:49], -v[58:59]
	v_fma_f64 v[16:17], v[16:17], 2.0, -v[56:57]
	v_add_f64 v[94:95], v[40:41], -v[46:47]
	;; [unrolled: 2-line block ×3, first 2 shown]
	v_fma_f64 v[22:23], v[22:23], 2.0, -v[38:39]
	v_fma_f64 v[8:9], v[8:9], 2.0, -v[32:33]
	;; [unrolled: 1-line block ×10, first 2 shown]
	s_mov_b32 s20, 0xa6aea964
	v_fma_f64 v[38:39], v[52:53], 2.0, -v[86:87]
	v_add_f64 v[26:27], v[30:31], -v[26:27]
	v_fma_f64 v[42:43], v[42:43], 2.0, -v[88:89]
	s_mov_b32 s21, 0x3fd87de2
	v_fma_f64 v[44:45], v[50:51], 2.0, -v[90:91]
	v_fma_f64 v[50:51], v[90:91], s[6:7], v[88:89]
	v_fma_f64 v[46:47], v[48:49], 2.0, -v[92:93]
	v_fma_f64 v[48:49], v[84:85], s[6:7], v[82:83]
	v_fma_f64 v[40:41], v[40:41], 2.0, -v[94:95]
	v_add_f64 v[12:13], v[0:1], -v[12:13]
	v_fma_f64 v[32:33], v[32:33], 2.0, -v[96:97]
	v_add_f64 v[22:23], v[10:11], -v[22:23]
	v_add_f64 v[16:17], v[4:5], -v[16:17]
	;; [unrolled: 1-line block ×4, first 2 shown]
	v_fma_f64 v[52:53], v[92:93], s[6:7], v[94:95]
	v_add_f64 v[14:15], v[2:3], -v[14:15]
	v_fma_f64 v[54:55], v[86:87], s[6:7], v[96:97]
	v_add_f64 v[18:19], v[6:7], -v[18:19]
	s_mov_b32 s23, 0xbfd87de2
	v_fma_f64 v[56:57], v[36:37], s[10:11], v[34:35]
	s_mov_b32 s22, s20
	s_mov_b32 s25, 0xbfed906b
	v_fma_f64 v[30:31], v[30:31], 2.0, -v[26:27]
	s_mov_b32 s24, s12
	v_fma_f64 v[58:59], v[44:45], s[10:11], v[42:43]
	v_fma_f64 v[50:51], v[92:93], s[6:7], v[50:51]
	;; [unrolled: 1-line block ×4, first 2 shown]
	v_fma_f64 v[0:1], v[0:1], 2.0, -v[12:13]
	v_fma_f64 v[62:63], v[38:39], s[10:11], v[32:33]
	v_fma_f64 v[10:11], v[10:11], 2.0, -v[22:23]
	v_fma_f64 v[4:5], v[4:5], 2.0, -v[16:17]
	;; [unrolled: 1-line block ×4, first 2 shown]
	v_add_f64 v[86:87], v[22:23], v[24:25]
	v_add_f64 v[16:17], v[14:15], v[16:17]
	v_fma_f64 v[2:3], v[2:3], 2.0, -v[14:15]
	v_fma_f64 v[6:7], v[6:7], 2.0, -v[18:19]
	v_fma_f64 v[24:25], v[90:91], s[10:11], v[52:53]
	v_fma_f64 v[52:53], v[84:85], s[10:11], v[54:55]
	v_add_f64 v[18:19], v[12:13], -v[18:19]
	v_add_f64 v[54:55], v[20:21], -v[26:27]
	v_fma_f64 v[56:57], v[38:39], s[6:7], v[56:57]
	v_fma_f64 v[38:39], v[46:47], s[6:7], v[58:59]
	v_fma_f64 v[58:59], v[82:83], 2.0, -v[48:49]
	v_fma_f64 v[26:27], v[44:45], s[10:11], v[60:61]
	v_fma_f64 v[44:45], v[36:37], s[10:11], v[62:63]
	v_add_f64 v[36:37], v[10:11], -v[30:31]
	v_add_f64 v[4:5], v[0:1], -v[4:5]
	;; [unrolled: 1-line block ×3, first 2 shown]
	v_fma_f64 v[28:29], v[88:89], 2.0, -v[50:51]
	v_fma_f64 v[30:31], v[14:15], 2.0, -v[16:17]
	;; [unrolled: 1-line block ×3, first 2 shown]
	v_add_f64 v[14:15], v[2:3], -v[6:7]
	v_fma_f64 v[22:23], v[94:95], 2.0, -v[24:25]
	v_fma_f64 v[62:63], v[96:97], 2.0, -v[52:53]
	;; [unrolled: 1-line block ×5, first 2 shown]
	v_fma_f64 v[6:7], v[50:51], s[12:13], v[48:49]
	v_fma_f64 v[20:21], v[16:17], s[6:7], v[86:87]
	v_fma_f64 v[34:35], v[42:43], 2.0, -v[38:39]
	v_fma_f64 v[42:43], v[18:19], s[6:7], v[54:55]
	v_fma_f64 v[90:91], v[38:39], s[20:21], v[56:57]
	v_fma_f64 v[40:41], v[40:41], 2.0, -v[26:27]
	v_fma_f64 v[88:89], v[32:33], 2.0, -v[44:45]
	v_fma_f64 v[32:33], v[24:25], s[12:13], v[52:53]
	v_fma_f64 v[96:97], v[10:11], 2.0, -v[36:37]
	v_fma_f64 v[102:103], v[0:1], 2.0, -v[4:5]
	;; [unrolled: 1-line block ×3, first 2 shown]
	v_fma_f64 v[92:93], v[28:29], s[22:23], v[58:59]
	v_fma_f64 v[108:109], v[26:27], s[20:21], v[44:45]
	;; [unrolled: 1-line block ×3, first 2 shown]
	v_fma_f64 v[98:99], v[2:3], 2.0, -v[14:15]
	v_add_f64 v[10:11], v[36:37], v[4:5]
	v_fma_f64 v[106:107], v[22:23], s[22:23], v[62:63]
	v_add_f64 v[8:9], v[46:47], -v[14:15]
	v_fma_f64 v[104:105], v[12:13], s[10:11], v[82:83]
	v_fma_f64 v[2:3], v[24:25], s[20:21], v[6:7]
	;; [unrolled: 1-line block ×6, first 2 shown]
	v_mul_u32_u24_e32 v90, 0xf0, v75
	v_fma_f64 v[112:113], v[40:41], s[24:25], v[88:89]
	v_fma_f64 v[0:1], v[50:51], s[22:23], v[32:33]
	v_add3_u32 v80, v81, v90, v80
	v_add_f64 v[24:25], v[100:101], -v[102:103]
	v_fma_f64 v[18:19], v[22:23], s[12:13], v[92:93]
	v_fma_f64 v[22:23], v[12:13], s[6:7], v[94:95]
	v_add_f64 v[26:27], v[96:97], -v[98:99]
	v_fma_f64 v[12:13], v[38:39], s[24:25], v[108:109]
	v_fma_f64 v[16:17], v[28:29], s[24:25], v[106:107]
	v_fma_f64 v[42:43], v[36:37], 2.0, -v[10:11]
	v_fma_f64 v[20:21], v[30:31], s[10:11], v[104:105]
	v_fma_f64 v[38:39], v[86:87], 2.0, -v[6:7]
	;; [unrolled: 2-line block ×3, first 2 shown]
	v_fma_f64 v[36:37], v[54:55], 2.0, -v[4:5]
	v_fma_f64 v[46:47], v[56:57], 2.0, -v[14:15]
	v_fma_f64 v[28:29], v[34:35], s[22:23], v[112:113]
	v_fma_f64 v[34:35], v[48:49], 2.0, -v[2:3]
	v_fma_f64 v[32:33], v[52:53], 2.0, -v[0:1]
	;; [unrolled: 1-line block ×11, first 2 shown]
	ds_write_b128 v80, v[8:11] offset:192
	ds_write_b128 v80, v[4:7] offset:224
	;; [unrolled: 1-line block ×9, first 2 shown]
	ds_write_b128 v80, v[56:59]
	ds_write_b128 v80, v[52:55] offset:32
	ds_write_b128 v80, v[48:51] offset:48
	;; [unrolled: 1-line block ×6, first 2 shown]
.LBB0_15:
	s_or_b32 exec_lo, exec_lo, s15
	v_mul_u32_u24_e32 v0, 7, v75
	s_waitcnt lgkmcnt(0)
	s_barrier
	buffer_gl0_inv
	v_add_nc_u32_e32 v28, s18, v73
	v_lshlrev_b32_e32 v16, 4, v0
	v_or_b32_e32 v30, 16, v75
	v_or_b32_e32 v31, 32, v75
	;; [unrolled: 1-line block ×4, first 2 shown]
	s_clause 0x6
	global_load_dwordx4 v[8:11], v16, s[16:17]
	global_load_dwordx4 v[4:7], v16, s[16:17] offset:16
	global_load_dwordx4 v[0:3], v16, s[16:17] offset:48
	;; [unrolled: 1-line block ×6, first 2 shown]
	v_or_b32_e32 v34, 0x50, v75
	v_or_b32_e32 v35, 0x60, v75
	;; [unrolled: 1-line block ×3, first 2 shown]
	v_mul_lo_u32 v37, v28, v75
	v_mul_lo_u32 v30, v28, v30
	v_mul_lo_u32 v31, v28, v31
	v_mul_lo_u32 v32, v28, v32
	v_mul_lo_u32 v33, v28, v33
	v_mul_lo_u32 v34, v28, v34
	v_mul_lo_u32 v35, v28, v35
	v_mul_lo_u32 v28, v28, v36
	v_mov_b32_e32 v29, 4
	v_bfe_u32 v36, v37, 8, 8
	v_bfe_u32 v38, v30, 8, 8
	s_mov_b32 s6, 0x667f3bcd
	s_mov_b32 s7, 0xbfe6a09e
	v_lshlrev_b32_sdwa v39, v29, v30 dst_sel:DWORD dst_unused:UNUSED_PAD src0_sel:DWORD src1_sel:BYTE_0
	v_lshlrev_b32_sdwa v44, v29, v31 dst_sel:DWORD dst_unused:UNUSED_PAD src0_sel:DWORD src1_sel:BYTE_0
	v_bfe_u32 v30, v31, 8, 8
	v_lshlrev_b32_sdwa v84, v29, v32 dst_sel:DWORD dst_unused:UNUSED_PAD src0_sel:DWORD src1_sel:BYTE_0
	v_bfe_u32 v31, v32, 8, 8
	v_bfe_u32 v32, v33, 8, 8
	v_lshlrev_b32_sdwa v92, v29, v33 dst_sel:DWORD dst_unused:UNUSED_PAD src0_sel:DWORD src1_sel:BYTE_0
	v_bfe_u32 v33, v35, 8, 8
	v_lshlrev_b32_sdwa v60, v29, v28 dst_sel:DWORD dst_unused:UNUSED_PAD src0_sel:DWORD src1_sel:BYTE_0
	;; [unrolled: 2-line block ×4, first 2 shown]
	v_lshl_or_b32 v34, v36, 4, 0x1000
	v_lshl_or_b32 v40, v38, 4, 0x1000
	;; [unrolled: 1-line block ×3, first 2 shown]
	v_lshlrev_b32_sdwa v52, v29, v35 dst_sel:DWORD dst_unused:UNUSED_PAD src0_sel:DWORD src1_sel:BYTE_0
	v_lshl_or_b32 v48, v30, 4, 0x1000
	v_lshl_or_b32 v56, v33, 4, 0x1000
	;; [unrolled: 1-line block ×4, first 2 shown]
	s_clause 0xb
	global_load_dwordx4 v[28:31], v37, s[8:9]
	global_load_dwordx4 v[32:35], v34, s[8:9]
	;; [unrolled: 1-line block ×12, first 2 shown]
	v_lshl_or_b32 v104, v93, 4, 0x1000
	s_clause 0x3
	global_load_dwordx4 v[92:95], v92, s[8:9]
	global_load_dwordx4 v[96:99], v96, s[8:9]
	;; [unrolled: 1-line block ×4, first 2 shown]
	ds_read_b128 v[108:111], v78 offset:256
	ds_read_b128 v[112:115], v78 offset:512
	ds_read_b128 v[116:119], v79
	ds_read_b128 v[120:123], v78 offset:768
	ds_read_b128 v[124:127], v78 offset:1024
	s_mov_b32 s9, 0x3fe6a09e
	s_mov_b32 s8, s6
	s_waitcnt vmcnt(22) lgkmcnt(4)
	v_mul_f64 v[128:129], v[110:111], v[10:11]
	v_mul_f64 v[10:11], v[108:109], v[10:11]
	s_waitcnt vmcnt(21) lgkmcnt(3)
	v_mul_f64 v[130:131], v[114:115], v[6:7]
	v_mul_f64 v[132:133], v[112:113], v[6:7]
	;; [unrolled: 3-line block ×3, first 2 shown]
	v_fma_f64 v[128:129], v[108:109], v[8:9], -v[128:129]
	v_fma_f64 v[10:11], v[110:111], v[8:9], v[10:11]
	ds_read_b128 v[6:9], v78 offset:1280
	v_fma_f64 v[112:113], v[112:113], v[4:5], -v[130:131]
	v_fma_f64 v[114:115], v[114:115], v[4:5], v[132:133]
	ds_read_b128 v[2:5], v78 offset:1536
	ds_read_b128 v[108:111], v78 offset:1792
	v_fma_f64 v[124:125], v[124:125], v[0:1], -v[134:135]
	v_fma_f64 v[0:1], v[126:127], v[0:1], v[136:137]
	s_waitcnt vmcnt(18)
	v_mul_f64 v[130:131], v[122:123], v[14:15]
	v_mul_f64 v[14:15], v[120:121], v[14:15]
	s_waitcnt vmcnt(0) lgkmcnt(0)
	s_barrier
	buffer_gl0_inv
	v_mul_f64 v[132:133], v[6:7], v[22:23]
	v_mul_f64 v[22:23], v[8:9], v[22:23]
	;; [unrolled: 1-line block ×4, first 2 shown]
	v_add_f64 v[0:1], v[118:119], -v[0:1]
	v_fma_f64 v[8:9], v[8:9], v[20:21], v[132:133]
	v_fma_f64 v[6:7], v[6:7], v[20:21], -v[22:23]
	v_fma_f64 v[2:3], v[2:3], v[24:25], -v[126:127]
	v_fma_f64 v[4:5], v[4:5], v[24:25], v[26:27]
	v_mul_f64 v[24:25], v[110:111], v[18:19]
	v_mul_f64 v[18:19], v[108:109], v[18:19]
	v_fma_f64 v[26:27], v[120:121], v[12:13], -v[130:131]
	v_fma_f64 v[12:13], v[122:123], v[12:13], v[14:15]
	v_fma_f64 v[22:23], v[118:119], 2.0, -v[0:1]
	v_mul_f64 v[120:121], v[30:31], v[34:35]
	v_mul_f64 v[34:35], v[28:29], v[34:35]
	;; [unrolled: 1-line block ×6, first 2 shown]
	v_add_f64 v[8:9], v[10:11], -v[8:9]
	v_add_f64 v[6:7], v[128:129], -v[6:7]
	;; [unrolled: 1-line block ×4, first 2 shown]
	v_fma_f64 v[24:25], v[108:109], v[16:17], -v[24:25]
	v_fma_f64 v[14:15], v[110:111], v[16:17], v[18:19]
	v_add_f64 v[16:17], v[116:117], -v[124:125]
	v_mul_f64 v[124:125], v[52:53], v[58:59]
	v_fma_f64 v[28:29], v[28:29], v[32:33], -v[120:121]
	v_fma_f64 v[36:37], v[36:37], v[40:41], -v[122:123]
	v_fma_f64 v[38:39], v[38:39], v[40:41], v[42:43]
	v_fma_f64 v[10:11], v[10:11], 2.0, -v[8:9]
	v_fma_f64 v[108:109], v[114:115], 2.0, -v[4:5]
	v_add_f64 v[18:19], v[26:27], -v[24:25]
	v_add_f64 v[14:15], v[12:13], -v[14:15]
	v_fma_f64 v[20:21], v[116:117], 2.0, -v[16:17]
	v_fma_f64 v[24:25], v[112:113], 2.0, -v[2:3]
	v_add_f64 v[2:3], v[0:1], v[2:3]
	v_fma_f64 v[112:113], v[128:129], 2.0, -v[6:7]
	v_add_f64 v[4:5], v[16:17], -v[4:5]
	v_mul_f64 v[128:129], v[60:61], v[82:83]
	v_add_f64 v[110:111], v[8:9], v[18:19]
	v_fma_f64 v[12:13], v[12:13], 2.0, -v[14:15]
	v_fma_f64 v[18:19], v[26:27], 2.0, -v[18:19]
	v_add_f64 v[14:15], v[6:7], -v[14:15]
	v_fma_f64 v[0:1], v[0:1], 2.0, -v[2:3]
	v_add_f64 v[24:25], v[20:21], -v[24:25]
	v_add_f64 v[26:27], v[22:23], -v[108:109]
	v_fma_f64 v[16:17], v[16:17], 2.0, -v[4:5]
	v_fma_f64 v[8:9], v[8:9], 2.0, -v[110:111]
	v_add_f64 v[12:13], v[10:11], -v[12:13]
	v_add_f64 v[18:19], v[112:113], -v[18:19]
	v_fma_f64 v[6:7], v[6:7], 2.0, -v[14:15]
	v_fma_f64 v[108:109], v[110:111], s[8:9], v[2:3]
	v_fma_f64 v[114:115], v[14:15], s[8:9], v[4:5]
	v_fma_f64 v[20:21], v[20:21], 2.0, -v[24:25]
	v_fma_f64 v[22:23], v[22:23], 2.0, -v[26:27]
	v_fma_f64 v[116:117], v[8:9], s[6:7], v[0:1]
	v_fma_f64 v[10:11], v[10:11], 2.0, -v[12:13]
	v_fma_f64 v[112:113], v[112:113], 2.0, -v[18:19]
	v_fma_f64 v[118:119], v[6:7], s[6:7], v[16:17]
	v_add_f64 v[18:19], v[26:27], v[18:19]
	v_add_f64 v[12:13], v[24:25], -v[12:13]
	v_fma_f64 v[14:15], v[14:15], s[8:9], v[108:109]
	v_fma_f64 v[108:109], v[110:111], s[6:7], v[114:115]
	v_mul_f64 v[110:111], v[92:93], v[98:99]
	v_mul_f64 v[114:115], v[100:101], v[106:107]
	v_fma_f64 v[116:117], v[6:7], s[8:9], v[116:117]
	v_mul_f64 v[6:7], v[46:47], v[50:51]
	v_add_f64 v[50:51], v[22:23], -v[10:11]
	v_add_f64 v[112:113], v[20:21], -v[112:113]
	v_fma_f64 v[118:119], v[8:9], s[6:7], v[118:119]
	v_fma_f64 v[10:11], v[30:31], v[32:33], v[34:35]
	v_mul_f64 v[30:31], v[94:95], v[98:99]
	v_mul_f64 v[32:33], v[102:103], v[106:107]
	;; [unrolled: 1-line block ×3, first 2 shown]
	v_fma_f64 v[54:55], v[54:55], v[56:57], v[124:125]
	v_mul_f64 v[8:9], v[86:87], v[90:91]
	v_mul_f64 v[58:59], v[62:63], v[82:83]
	v_fma_f64 v[62:63], v[62:63], v[80:81], v[128:129]
	v_fma_f64 v[46:47], v[46:47], v[48:49], v[126:127]
	v_fma_f64 v[26:27], v[26:27], 2.0, -v[18:19]
	v_fma_f64 v[24:25], v[24:25], 2.0, -v[12:13]
	v_fma_f64 v[82:83], v[86:87], v[88:89], v[130:131]
	v_fma_f64 v[86:87], v[2:3], 2.0, -v[14:15]
	v_fma_f64 v[90:91], v[4:5], 2.0, -v[108:109]
	v_fma_f64 v[2:3], v[94:95], v[96:97], v[110:111]
	v_fma_f64 v[4:5], v[102:103], v[104:105], v[114:115]
	v_fma_f64 v[94:95], v[0:1], 2.0, -v[116:117]
	v_fma_f64 v[40:41], v[22:23], 2.0, -v[50:51]
	;; [unrolled: 1-line block ×4, first 2 shown]
	v_fma_f64 v[16:17], v[44:45], v[48:49], -v[6:7]
	v_fma_f64 v[22:23], v[92:93], v[96:97], -v[30:31]
	;; [unrolled: 1-line block ×4, first 2 shown]
	v_mul_f64 v[0:1], v[18:19], v[54:55]
	v_mul_f64 v[32:33], v[12:13], v[54:55]
	v_fma_f64 v[20:21], v[84:85], v[88:89], -v[8:9]
	v_fma_f64 v[8:9], v[60:61], v[80:81], -v[58:59]
	v_mul_f64 v[34:35], v[14:15], v[62:63]
	v_mul_f64 v[44:45], v[108:109], v[62:63]
	;; [unrolled: 1-line block ×14, first 2 shown]
	v_fma_f64 v[0:1], v[12:13], v[6:7], -v[0:1]
	v_fma_f64 v[2:3], v[18:19], v[6:7], v[32:33]
	v_fma_f64 v[4:5], v[108:109], v[8:9], -v[34:35]
	v_fma_f64 v[6:7], v[14:15], v[8:9], v[44:45]
	;; [unrolled: 2-line block ×8, first 2 shown]
	ds_write_b128 v78, v[0:3] offset:1536
	ds_write_b128 v78, v[4:7] offset:1792
	;; [unrolled: 1-line block ×6, first 2 shown]
	ds_write_b128 v78, v[24:27]
	ds_write_b128 v78, v[28:31] offset:256
	s_waitcnt lgkmcnt(0)
	s_barrier
	buffer_gl0_inv
	s_and_saveexec_b32 s6, s14
	s_cbranch_execz .LBB0_17
; %bb.16:
	v_mad_u64_u32 v[4:5], null, s2, v75, 0
	v_mad_u64_u32 v[6:7], null, s0, v73, 0
	v_or_b32_e32 v12, v74, v73
	v_mad_u64_u32 v[8:9], null, s0, v76, 0
	v_mad_u64_u32 v[10:11], null, s0, v77, 0
	v_mov_b32_e32 v0, v5
	v_mov_b32_e32 v1, v7
	v_add_co_u32 v15, vcc_lo, s4, v64
	v_add_co_ci_u32_e32 v16, vcc_lo, s5, v65, vcc_lo
	v_mad_u64_u32 v[2:3], null, s3, v75, v[0:1]
	v_lshl_add_u32 v0, v12, 4, 0
	v_mad_u64_u32 v[20:21], null, s0, v70, 0
	v_mad_u64_u32 v[22:23], null, s0, v69, 0
	;; [unrolled: 1-line block ×3, first 2 shown]
	v_mov_b32_e32 v5, v2
	ds_read_b128 v[0:3], v0
	v_lshlrev_b64 v[4:5], 4, v[4:5]
	v_mov_b32_e32 v7, v12
	v_mad_u64_u32 v[12:13], null, s1, v76, v[9:10]
	v_lshlrev_b64 v[6:7], 4, v[6:7]
	v_add_co_u32 v31, vcc_lo, v15, v4
	v_add_co_ci_u32_e32 v32, vcc_lo, v16, v5, vcc_lo
	v_add_nc_u32_e32 v4, v74, v73
	v_mad_u64_u32 v[13:14], null, s1, v77, v[11:12]
	v_add_co_u32 v14, vcc_lo, v31, v6
	v_add_co_ci_u32_e32 v15, vcc_lo, v32, v7, vcc_lo
	v_lshl_add_u32 v30, v4, 4, 0
	v_mov_b32_e32 v9, v12
	v_mov_b32_e32 v11, v13
	v_mad_u64_u32 v[12:13], null, s0, v72, 0
	ds_read_b128 v[4:7], v30 offset:256
	s_waitcnt lgkmcnt(1)
	global_store_dwordx4 v[14:15], v[0:3], off
	v_mad_u64_u32 v[14:15], null, s0, v71, 0
	ds_read_b128 v[0:3], v30 offset:512
	v_lshlrev_b64 v[8:9], 4, v[8:9]
	v_lshlrev_b64 v[10:11], 4, v[10:11]
	v_mad_u64_u32 v[16:17], null, s1, v72, v[13:14]
	v_mov_b32_e32 v13, v15
	v_add_co_u32 v8, vcc_lo, v31, v8
	v_add_co_ci_u32_e32 v9, vcc_lo, v32, v9, vcc_lo
	v_add_co_u32 v10, vcc_lo, v31, v10
	v_mad_u64_u32 v[17:18], null, s1, v71, v[13:14]
	v_add_co_ci_u32_e32 v11, vcc_lo, v32, v11, vcc_lo
	v_mov_b32_e32 v13, v16
	v_mad_u64_u32 v[18:19], null, s0, v68, 0
	s_waitcnt lgkmcnt(1)
	global_store_dwordx4 v[8:9], v[4:7], off
	ds_read_b128 v[4:7], v30 offset:768
	s_waitcnt lgkmcnt(1)
	global_store_dwordx4 v[10:11], v[0:3], off
	v_lshlrev_b64 v[0:1], 4, v[12:13]
	v_mov_b32_e32 v15, v17
	v_add3_u32 v16, 0, v66, v67
	v_mov_b32_e32 v2, v19
	v_add_co_u32 v24, vcc_lo, v31, v0
	v_add_co_ci_u32_e32 v25, vcc_lo, v32, v1, vcc_lo
	v_mad_u64_u32 v[1:2], null, s1, v68, v[2:3]
	v_mov_b32_e32 v0, v21
	v_lshlrev_b64 v[8:9], 4, v[14:15]
	v_mad_u64_u32 v[2:3], null, s1, v70, v[0:1]
	v_mov_b32_e32 v0, v23
	v_mov_b32_e32 v19, v1
	v_add_co_u32 v26, vcc_lo, v31, v8
	v_add_co_ci_u32_e32 v27, vcc_lo, v32, v9, vcc_lo
	v_mad_u64_u32 v[28:29], null, s1, v69, v[0:1]
	v_mov_b32_e32 v21, v2
	ds_read_b128 v[0:3], v30 offset:1024
	ds_read_b128 v[8:11], v16 offset:1280
	v_lshlrev_b64 v[29:30], 4, v[18:19]
	ds_read_b128 v[12:15], v16 offset:1536
	ds_read_b128 v[16:19], v16 offset:1792
	v_lshlrev_b64 v[20:21], 4, v[20:21]
	v_mov_b32_e32 v23, v28
	v_add_co_u32 v28, vcc_lo, v31, v29
	v_add_co_ci_u32_e32 v29, vcc_lo, v32, v30, vcc_lo
	v_lshlrev_b64 v[22:23], 4, v[22:23]
	v_add_co_u32 v20, vcc_lo, v31, v20
	v_add_co_ci_u32_e32 v21, vcc_lo, v32, v21, vcc_lo
	v_add_co_u32 v22, vcc_lo, v31, v22
	v_add_co_ci_u32_e32 v23, vcc_lo, v32, v23, vcc_lo
	s_waitcnt lgkmcnt(4)
	global_store_dwordx4 v[24:25], v[4:7], off
	s_waitcnt lgkmcnt(3)
	global_store_dwordx4 v[26:27], v[0:3], off
	;; [unrolled: 2-line block ×5, first 2 shown]
.LBB0_17:
	s_endpgm
	.section	.rodata,"a",@progbits
	.p2align	6, 0x0
	.amdhsa_kernel fft_rtc_fwd_len128_factors_16_8_wgs_256_tpt_16_dp_ip_CI_sbcc_twdbase8_2step
		.amdhsa_group_segment_fixed_size 0
		.amdhsa_private_segment_fixed_size 0
		.amdhsa_kernarg_size 96
		.amdhsa_user_sgpr_count 6
		.amdhsa_user_sgpr_private_segment_buffer 1
		.amdhsa_user_sgpr_dispatch_ptr 0
		.amdhsa_user_sgpr_queue_ptr 0
		.amdhsa_user_sgpr_kernarg_segment_ptr 1
		.amdhsa_user_sgpr_dispatch_id 0
		.amdhsa_user_sgpr_flat_scratch_init 0
		.amdhsa_user_sgpr_private_segment_size 0
		.amdhsa_wavefront_size32 1
		.amdhsa_uses_dynamic_stack 0
		.amdhsa_system_sgpr_private_segment_wavefront_offset 0
		.amdhsa_system_sgpr_workgroup_id_x 1
		.amdhsa_system_sgpr_workgroup_id_y 0
		.amdhsa_system_sgpr_workgroup_id_z 0
		.amdhsa_system_sgpr_workgroup_info 0
		.amdhsa_system_vgpr_workitem_id 0
		.amdhsa_next_free_vgpr 138
		.amdhsa_next_free_sgpr 44
		.amdhsa_reserve_vcc 1
		.amdhsa_reserve_flat_scratch 0
		.amdhsa_float_round_mode_32 0
		.amdhsa_float_round_mode_16_64 0
		.amdhsa_float_denorm_mode_32 3
		.amdhsa_float_denorm_mode_16_64 3
		.amdhsa_dx10_clamp 1
		.amdhsa_ieee_mode 1
		.amdhsa_fp16_overflow 0
		.amdhsa_workgroup_processor_mode 1
		.amdhsa_memory_ordered 1
		.amdhsa_forward_progress 0
		.amdhsa_shared_vgpr_count 0
		.amdhsa_exception_fp_ieee_invalid_op 0
		.amdhsa_exception_fp_denorm_src 0
		.amdhsa_exception_fp_ieee_div_zero 0
		.amdhsa_exception_fp_ieee_overflow 0
		.amdhsa_exception_fp_ieee_underflow 0
		.amdhsa_exception_fp_ieee_inexact 0
		.amdhsa_exception_int_div_zero 0
	.end_amdhsa_kernel
	.text
.Lfunc_end0:
	.size	fft_rtc_fwd_len128_factors_16_8_wgs_256_tpt_16_dp_ip_CI_sbcc_twdbase8_2step, .Lfunc_end0-fft_rtc_fwd_len128_factors_16_8_wgs_256_tpt_16_dp_ip_CI_sbcc_twdbase8_2step
                                        ; -- End function
	.section	.AMDGPU.csdata,"",@progbits
; Kernel info:
; codeLenInByte = 6064
; NumSgprs: 46
; NumVgprs: 138
; ScratchSize: 0
; MemoryBound: 0
; FloatMode: 240
; IeeeMode: 1
; LDSByteSize: 0 bytes/workgroup (compile time only)
; SGPRBlocks: 5
; VGPRBlocks: 17
; NumSGPRsForWavesPerEU: 46
; NumVGPRsForWavesPerEU: 138
; Occupancy: 7
; WaveLimiterHint : 1
; COMPUTE_PGM_RSRC2:SCRATCH_EN: 0
; COMPUTE_PGM_RSRC2:USER_SGPR: 6
; COMPUTE_PGM_RSRC2:TRAP_HANDLER: 0
; COMPUTE_PGM_RSRC2:TGID_X_EN: 1
; COMPUTE_PGM_RSRC2:TGID_Y_EN: 0
; COMPUTE_PGM_RSRC2:TGID_Z_EN: 0
; COMPUTE_PGM_RSRC2:TIDIG_COMP_CNT: 0
	.text
	.p2alignl 6, 3214868480
	.fill 48, 4, 3214868480
	.type	__hip_cuid_70b34e275bbc530a,@object ; @__hip_cuid_70b34e275bbc530a
	.section	.bss,"aw",@nobits
	.globl	__hip_cuid_70b34e275bbc530a
__hip_cuid_70b34e275bbc530a:
	.byte	0                               ; 0x0
	.size	__hip_cuid_70b34e275bbc530a, 1

	.ident	"AMD clang version 19.0.0git (https://github.com/RadeonOpenCompute/llvm-project roc-6.4.0 25133 c7fe45cf4b819c5991fe208aaa96edf142730f1d)"
	.section	".note.GNU-stack","",@progbits
	.addrsig
	.addrsig_sym __hip_cuid_70b34e275bbc530a
	.amdgpu_metadata
---
amdhsa.kernels:
  - .args:
      - .actual_access:  read_only
        .address_space:  global
        .offset:         0
        .size:           8
        .value_kind:     global_buffer
      - .address_space:  global
        .offset:         8
        .size:           8
        .value_kind:     global_buffer
      - .offset:         16
        .size:           8
        .value_kind:     by_value
      - .actual_access:  read_only
        .address_space:  global
        .offset:         24
        .size:           8
        .value_kind:     global_buffer
      - .actual_access:  read_only
        .address_space:  global
        .offset:         32
        .size:           8
        .value_kind:     global_buffer
      - .offset:         40
        .size:           8
        .value_kind:     by_value
      - .actual_access:  read_only
        .address_space:  global
        .offset:         48
        .size:           8
        .value_kind:     global_buffer
      - .actual_access:  read_only
        .address_space:  global
        .offset:         56
        .size:           8
        .value_kind:     global_buffer
      - .offset:         64
        .size:           4
        .value_kind:     by_value
      - .actual_access:  read_only
        .address_space:  global
        .offset:         72
        .size:           8
        .value_kind:     global_buffer
      - .actual_access:  read_only
        .address_space:  global
        .offset:         80
        .size:           8
        .value_kind:     global_buffer
      - .address_space:  global
        .offset:         88
        .size:           8
        .value_kind:     global_buffer
    .group_segment_fixed_size: 0
    .kernarg_segment_align: 8
    .kernarg_segment_size: 96
    .language:       OpenCL C
    .language_version:
      - 2
      - 0
    .max_flat_workgroup_size: 256
    .name:           fft_rtc_fwd_len128_factors_16_8_wgs_256_tpt_16_dp_ip_CI_sbcc_twdbase8_2step
    .private_segment_fixed_size: 0
    .sgpr_count:     46
    .sgpr_spill_count: 0
    .symbol:         fft_rtc_fwd_len128_factors_16_8_wgs_256_tpt_16_dp_ip_CI_sbcc_twdbase8_2step.kd
    .uniform_work_group_size: 1
    .uses_dynamic_stack: false
    .vgpr_count:     138
    .vgpr_spill_count: 0
    .wavefront_size: 32
    .workgroup_processor_mode: 1
amdhsa.target:   amdgcn-amd-amdhsa--gfx1030
amdhsa.version:
  - 1
  - 2
...

	.end_amdgpu_metadata
